;; amdgpu-corpus repo=ROCm/rocFFT kind=compiled arch=gfx950 opt=O3
	.text
	.amdgcn_target "amdgcn-amd-amdhsa--gfx950"
	.amdhsa_code_object_version 6
	.protected	bluestein_single_back_len378_dim1_sp_op_CI_CI ; -- Begin function bluestein_single_back_len378_dim1_sp_op_CI_CI
	.globl	bluestein_single_back_len378_dim1_sp_op_CI_CI
	.p2align	8
	.type	bluestein_single_back_len378_dim1_sp_op_CI_CI,@function
bluestein_single_back_len378_dim1_sp_op_CI_CI: ; @bluestein_single_back_len378_dim1_sp_op_CI_CI
; %bb.0:
	s_load_dwordx4 s[8:11], s[0:1], 0x28
	v_mul_u32_u24_e32 v1, 0x209, v0
	v_add_u32_sdwa v32, s2, v1 dst_sel:DWORD dst_unused:UNUSED_PAD src0_sel:DWORD src1_sel:WORD_1
	v_mov_b32_e32 v33, 0
	s_waitcnt lgkmcnt(0)
	v_cmp_gt_u64_e32 vcc, s[8:9], v[32:33]
	s_and_saveexec_b64 s[2:3], vcc
	s_cbranch_execz .LBB0_23
; %bb.1:
	s_load_dwordx2 s[8:9], s[0:1], 0x0
	s_load_dwordx2 s[12:13], s[0:1], 0x38
	s_movk_i32 s2, 0x7e
	v_mul_lo_u16_sdwa v1, v1, s2 dst_sel:DWORD dst_unused:UNUSED_PAD src0_sel:WORD_1 src1_sel:DWORD
	v_sub_u16_e32 v33, v0, v1
	v_cmp_gt_u16_e32 vcc, 63, v33
	v_lshlrev_b32_e32 v50, 3, v33
	s_and_saveexec_b64 s[2:3], vcc
	s_cbranch_execz .LBB0_3
; %bb.2:
	s_load_dwordx2 s[4:5], s[0:1], 0x18
	v_mov_b32_e32 v0, s10
	v_mov_b32_e32 v1, s11
	;; [unrolled: 1-line block ×3, first 2 shown]
	s_waitcnt lgkmcnt(0)
	s_load_dwordx4 s[4:7], s[4:5], 0x0
	s_waitcnt lgkmcnt(0)
	v_mad_u64_u32 v[2:3], s[10:11], s6, v32, 0
	v_mad_u64_u32 v[4:5], s[10:11], s4, v33, 0
	v_mov_b32_e32 v6, v3
	v_mov_b32_e32 v8, v5
	v_mad_u64_u32 v[6:7], s[6:7], s7, v32, v[6:7]
	v_mov_b32_e32 v3, v6
	v_mad_u64_u32 v[6:7], s[6:7], s5, v33, v[8:9]
	v_mov_b32_e32 v5, v6
	v_lshl_add_u64 v[0:1], v[2:3], 3, v[0:1]
	v_lshl_add_u64 v[0:1], v[4:5], 3, v[0:1]
	global_load_dwordx2 v[2:3], v[0:1], off
	v_mad_u64_u32 v[0:1], s[6:7], s4, v22, v[0:1]
	s_mul_i32 s10, s5, 0x1f8
	v_add_u32_e32 v1, s10, v1
	v_mad_u64_u32 v[8:9], s[6:7], s4, v22, v[0:1]
	v_add_u32_e32 v9, s10, v9
	global_load_dwordx2 v[4:5], v50, s[8:9]
	global_load_dwordx2 v[6:7], v50, s[8:9] offset:504
	global_load_dwordx2 v[10:11], v[8:9], off
	v_mad_u64_u32 v[8:9], s[6:7], s4, v22, v[8:9]
	global_load_dwordx2 v[0:1], v[0:1], off
	v_add_u32_e32 v9, s10, v9
	global_load_dwordx2 v[12:13], v50, s[8:9] offset:1008
	global_load_dwordx2 v[14:15], v50, s[8:9] offset:1512
	global_load_dwordx2 v[16:17], v[8:9], off
	v_mad_u64_u32 v[8:9], s[6:7], s4, v22, v[8:9]
	v_add_u32_e32 v9, s10, v9
	global_load_dwordx2 v[18:19], v[8:9], off
	global_load_dwordx2 v[20:21], v50, s[8:9] offset:2016
	v_mad_u64_u32 v[8:9], s[4:5], s4, v22, v[8:9]
	v_add_u32_e32 v9, s10, v9
	global_load_dwordx2 v[22:23], v50, s[8:9] offset:2520
	global_load_dwordx2 v[24:25], v[8:9], off
	s_waitcnt vmcnt(10)
	v_mul_f32_e32 v8, v3, v5
	v_mul_f32_e32 v5, v2, v5
	v_fmac_f32_e32 v8, v2, v4
	v_fma_f32 v9, v3, v4, -v5
	v_add_u32_e32 v4, 0x400, v50
	s_waitcnt vmcnt(7)
	v_mul_f32_e32 v2, v1, v7
	v_mul_f32_e32 v3, v0, v7
	v_fmac_f32_e32 v2, v0, v6
	v_fma_f32 v3, v1, v6, -v3
	ds_write2_b64 v50, v[8:9], v[2:3] offset1:63
	s_waitcnt vmcnt(6)
	v_mul_f32_e32 v0, v11, v13
	v_mul_f32_e32 v1, v10, v13
	s_waitcnt vmcnt(4)
	v_mul_f32_e32 v2, v17, v15
	v_mul_f32_e32 v3, v16, v15
	v_fmac_f32_e32 v0, v10, v12
	v_fma_f32 v1, v11, v12, -v1
	v_fmac_f32_e32 v2, v16, v14
	v_fma_f32 v3, v17, v14, -v3
	ds_write2_b64 v50, v[0:1], v[2:3] offset0:126 offset1:189
	s_waitcnt vmcnt(2)
	v_mul_f32_e32 v0, v19, v21
	v_mul_f32_e32 v1, v18, v21
	s_waitcnt vmcnt(0)
	v_mul_f32_e32 v2, v25, v23
	v_mul_f32_e32 v3, v24, v23
	v_fmac_f32_e32 v0, v18, v20
	v_fma_f32 v1, v19, v20, -v1
	v_fmac_f32_e32 v2, v24, v22
	v_fma_f32 v3, v25, v22, -v3
	ds_write2_b64 v4, v[0:1], v[2:3] offset0:124 offset1:187
.LBB0_3:
	s_or_b64 exec, exec, s[2:3]
	s_load_dwordx2 s[4:5], s[0:1], 0x20
	s_load_dwordx2 s[10:11], s[0:1], 0x8
	s_waitcnt lgkmcnt(0)
	s_barrier
	s_waitcnt lgkmcnt(0)
                                        ; implicit-def: $vgpr8
                                        ; implicit-def: $vgpr4
                                        ; implicit-def: $vgpr0
	s_and_saveexec_b64 s[0:1], vcc
	s_cbranch_execz .LBB0_5
; %bb.4:
	v_add_u32_e32 v8, 0x400, v50
	ds_read2_b64 v[0:3], v50 offset1:63
	ds_read2_b64 v[4:7], v50 offset0:126 offset1:189
	ds_read2_b64 v[8:11], v8 offset0:124 offset1:187
.LBB0_5:
	s_or_b64 exec, exec, s[0:1]
	s_waitcnt lgkmcnt(0)
	v_pk_add_f32 v[16:17], v[8:9], v[4:5]
	v_pk_add_f32 v[12:13], v[4:5], v[0:1]
	v_pk_fma_f32 v[0:1], v[16:17], 0.5, v[0:1] op_sel_hi:[1,0,1] neg_lo:[1,0,0] neg_hi:[1,0,0]
	s_mov_b32 s2, 0x3f5db3d7
	v_pk_add_f32 v[16:17], v[6:7], v[10:11]
	v_pk_add_f32 v[14:15], v[6:7], v[2:3]
	s_mov_b32 s3, 0xbf5db3d7
	v_pk_fma_f32 v[2:3], v[16:17], 0.5, v[2:3] op_sel_hi:[1,0,1] neg_lo:[1,0,0] neg_hi:[1,0,0]
	v_pk_add_f32 v[6:7], v[6:7], v[10:11] neg_lo:[0,1] neg_hi:[0,1]
	v_pk_add_f32 v[14:15], v[10:11], v[14:15]
	v_pk_add_f32 v[4:5], v[4:5], v[8:9] neg_lo:[0,1] neg_hi:[0,1]
	v_pk_fma_f32 v[10:11], v[6:7], s[2:3], v[2:3] op_sel:[0,0,1] op_sel_hi:[1,0,0]
	v_pk_fma_f32 v[6:7], v[6:7], s[2:3], v[2:3] op_sel:[0,0,1] op_sel_hi:[1,0,0] neg_lo:[1,0,0] neg_hi:[1,0,0]
	v_pk_add_f32 v[12:13], v[8:9], v[12:13]
	v_pk_mul_f32 v[8:9], v[4:5], s[2:3] op_sel_hi:[1,0]
	v_mov_b32_e32 v16, v10
	v_mov_b32_e32 v17, v7
	v_mul_f32_e32 v2, 0xbf5db3d7, v11
	v_pk_add_f32 v[4:5], v[8:9], v[0:1] op_sel:[1,0] op_sel_hi:[0,1]
	v_pk_add_f32 v[0:1], v[0:1], v[8:9] op_sel:[0,1] op_sel_hi:[1,0] neg_lo:[0,1] neg_hi:[0,1]
	v_mul_f32_e32 v3, 0x3f5db3d7, v6
	v_fmac_f32_e32 v2, 0.5, v6
	v_pk_mul_f32 v[6:7], v[16:17], 0.5 op_sel_hi:[1,0]
	v_mov_b32_e32 v8, v0
	v_mov_b32_e32 v9, v5
	v_fmac_f32_e32 v3, 0.5, v11
	v_pk_fma_f32 v[6:7], v[16:17], s[2:3], v[6:7] op_sel:[0,0,1] op_sel_hi:[1,1,0] neg_lo:[0,0,1] neg_hi:[0,0,1]
	v_sub_f32_e32 v24, v4, v3
	v_pk_add_f32 v[28:29], v[12:13], v[14:15] neg_lo:[0,1] neg_hi:[0,1]
	v_sub_f32_e32 v25, v1, v2
	v_pk_add_f32 v[20:21], v[8:9], v[6:7] neg_lo:[0,1] neg_hi:[0,1]
	v_mul_lo_u16_e32 v51, 6, v33
	s_barrier
	s_and_saveexec_b64 s[0:1], vcc
	s_cbranch_execz .LBB0_7
; %bb.6:
	v_add_f32_e32 v10, v4, v3
	v_mov_b32_e32 v3, v6
	v_add_f32_e32 v5, v9, v7
	v_lshlrev_b32_e32 v4, 3, v51
	v_pk_add_f32 v[8:9], v[14:15], v[12:13]
	v_pk_add_f32 v[0:1], v[0:1], v[2:3] op_sel:[1,0] op_sel_hi:[0,1]
	ds_write_b96 v4, v[8:10]
	ds_write2_b32 v4, v0, v1 offset0:3 offset1:4
	ds_write_b32 v4, v5 offset:20
	ds_write2_b64 v4, v[28:29], v[24:25] offset0:3 offset1:4
	ds_write_b64 v4, v[20:21] offset:40
.LBB0_7:
	s_or_b64 exec, exec, s[0:1]
	s_movk_i32 s0, 0xab
	v_mul_lo_u16_sdwa v0, v33, s0 dst_sel:DWORD dst_unused:UNUSED_PAD src0_sel:BYTE_0 src1_sel:DWORD
	v_lshrrev_b16_e32 v10, 10, v0
	v_mul_lo_u16_e32 v0, 6, v10
	v_sub_u16_e32 v0, v33, v0
	v_and_b32_e32 v11, 0xff, v0
	v_lshlrev_b32_e32 v0, 4, v11
	s_load_dwordx4 s[4:7], s[4:5], 0x0
	s_waitcnt lgkmcnt(0)
	s_barrier
	global_load_dwordx4 v[0:3], v0, s[10:11]
	v_mov_b32_e32 v12, 57
	ds_read2_b64 v[4:7], v50 offset1:126
	ds_read_b64 v[8:9], v50 offset:2016
	v_mul_lo_u16_sdwa v12, v33, v12 dst_sel:DWORD dst_unused:UNUSED_PAD src0_sel:BYTE_0 src1_sel:DWORD
	v_lshrrev_b16_e32 v13, 10, v12
	v_mul_lo_u16_e32 v12, 18, v13
	v_mul_u32_u24_e32 v10, 18, v10
	v_sub_u16_e32 v12, v33, v12
	v_and_b32_e32 v16, 0xff, v12
	v_add_lshl_u32 v52, v10, v11, 3
	v_lshlrev_b32_e32 v17, 4, v16
	s_waitcnt lgkmcnt(0)
	s_barrier
	v_cmp_gt_u16_e64 s[0:1], 54, v33
	s_waitcnt vmcnt(0)
	v_pk_mul_f32 v[10:11], v[6:7], v[0:1] op_sel:[0,1]
	v_mov_b32_e32 v12, v3
	v_pk_fma_f32 v[14:15], v[6:7], v[0:1], v[10:11] op_sel:[0,0,1] op_sel_hi:[1,1,0] neg_lo:[0,0,1] neg_hi:[0,0,1]
	v_pk_fma_f32 v[6:7], v[6:7], v[0:1], v[10:11] op_sel:[0,0,1] op_sel_hi:[1,0,0]
	v_pk_mul_f32 v[10:11], v[8:9], v[12:13] op_sel_hi:[1,0]
	v_mov_b32_e32 v15, v7
	v_pk_fma_f32 v[6:7], v[8:9], v[2:3], v[10:11] op_sel:[0,0,1] op_sel_hi:[1,1,0] neg_lo:[0,0,1] neg_hi:[0,0,1]
	v_pk_fma_f32 v[8:9], v[8:9], v[2:3], v[10:11] op_sel:[0,0,1] op_sel_hi:[1,0,0]
	s_nop 0
	v_mov_b32_e32 v7, v9
	v_pk_add_f32 v[8:9], v[4:5], v[14:15]
	v_pk_add_f32 v[10:11], v[14:15], v[6:7]
	;; [unrolled: 1-line block ×3, first 2 shown]
	v_pk_add_f32 v[6:7], v[14:15], v[6:7] neg_lo:[0,1] neg_hi:[0,1]
	v_pk_fma_f32 v[4:5], v[10:11], 0.5, v[4:5] op_sel_hi:[1,0,1] neg_lo:[1,0,0] neg_hi:[1,0,0]
	v_pk_mul_f32 v[6:7], v[6:7], s[2:3] op_sel_hi:[1,0]
	s_nop 0
	v_pk_add_f32 v[10:11], v[4:5], v[6:7] op_sel:[0,1] op_sel_hi:[1,0]
	v_pk_add_f32 v[4:5], v[4:5], v[6:7] op_sel:[0,1] op_sel_hi:[1,0] neg_lo:[0,1] neg_hi:[0,1]
	v_mov_b32_e32 v6, v10
	v_mov_b32_e32 v7, v5
	;; [unrolled: 1-line block ×3, first 2 shown]
	ds_write2_b64 v52, v[8:9], v[6:7] offset1:6
	ds_write_b64 v52, v[4:5] offset:96
	s_waitcnt lgkmcnt(0)
	s_barrier
	global_load_dwordx4 v[4:7], v17, s[10:11] offset:96
	v_mul_u32_u24_e32 v8, 54, v13
	v_add_lshl_u32 v53, v8, v16, 3
	ds_read2_b64 v[8:11], v50 offset1:126
	ds_read_b64 v[12:13], v50 offset:2016
	s_waitcnt lgkmcnt(0)
	s_barrier
	s_waitcnt vmcnt(0)
	v_pk_mul_f32 v[14:15], v[10:11], v[4:5] op_sel:[0,1]
	v_mov_b32_e32 v16, v7
	v_pk_fma_f32 v[18:19], v[10:11], v[4:5], v[14:15] op_sel:[0,0,1] op_sel_hi:[1,0,0]
	v_pk_fma_f32 v[10:11], v[10:11], v[4:5], v[14:15] op_sel:[0,0,1] op_sel_hi:[1,0,0] neg_lo:[0,0,1] neg_hi:[0,0,1]
	v_pk_mul_f32 v[14:15], v[12:13], v[16:17] op_sel_hi:[1,0]
	v_mov_b32_e32 v11, v19
	v_pk_fma_f32 v[16:17], v[12:13], v[6:7], v[14:15] op_sel:[0,0,1] op_sel_hi:[1,0,0]
	v_pk_fma_f32 v[12:13], v[12:13], v[6:7], v[14:15] op_sel:[0,0,1] op_sel_hi:[1,0,0] neg_lo:[0,0,1] neg_hi:[0,0,1]
	v_pk_add_f32 v[14:15], v[8:9], v[10:11]
	v_mov_b32_e32 v13, v17
	v_pk_add_f32 v[22:23], v[14:15], v[12:13]
	v_pk_add_f32 v[14:15], v[10:11], v[12:13]
	v_pk_add_f32 v[10:11], v[10:11], v[12:13] neg_lo:[0,1] neg_hi:[0,1]
	v_pk_fma_f32 v[8:9], v[14:15], 0.5, v[8:9] op_sel_hi:[1,0,1] neg_lo:[1,0,0] neg_hi:[1,0,0]
	v_pk_mul_f32 v[10:11], v[10:11], s[2:3] op_sel_hi:[1,0]
	v_cmp_lt_u16_e64 s[2:3], 53, v33
	v_pk_add_f32 v[26:27], v[8:9], v[10:11] op_sel:[0,1] op_sel_hi:[1,0] neg_lo:[0,1] neg_hi:[0,1]
	v_pk_add_f32 v[30:31], v[10:11], v[8:9] op_sel:[1,0] op_sel_hi:[0,1]
	v_mov_b32_e32 v8, v30
	v_mov_b32_e32 v9, v27
	;; [unrolled: 1-line block ×4, first 2 shown]
	ds_write2_b64 v53, v[22:23], v[8:9] offset1:18
	ds_write_b64 v53, v[10:11] offset:288
	s_waitcnt lgkmcnt(0)
	s_barrier
	s_and_saveexec_b64 s[14:15], s[2:3]
	s_xor_b64 s[14:15], exec, s[14:15]
	s_or_saveexec_b64 s[14:15], s[14:15]
                                        ; implicit-def: $vgpr34
	s_xor_b64 exec, exec, s[14:15]
	s_cbranch_execz .LBB0_9
; %bb.8:
	ds_read2_b64 v[22:25], v50 offset1:54
	ds_read2_b64 v[26:29], v50 offset0:108 offset1:162
	v_add_u32_e32 v8, 0x400, v50
	ds_read2_b64 v[18:21], v8 offset0:88 offset1:142
	ds_read_b64 v[34:35], v50 offset:2592
	s_waitcnt lgkmcnt(3)
	v_mov_b32_e32 v30, v24
	s_waitcnt lgkmcnt(2)
	v_mov_b32_e32 v31, v27
	v_mov_b32_e32 v27, v25
	s_waitcnt lgkmcnt(1)
	v_mov_b32_e32 v24, v18
	v_mov_b32_e32 v25, v19
.LBB0_9:
	s_or_b64 exec, exec, s[14:15]
	v_mov_b32_e32 v8, 19
	v_mul_lo_u16_sdwa v8, v33, v8 dst_sel:DWORD dst_unused:UNUSED_PAD src0_sel:BYTE_0 src1_sel:DWORD
	v_lshrrev_b16_e32 v8, 10, v8
	v_mul_lo_u16_e32 v8, 54, v8
	v_sub_u16_e32 v8, v33, v8
	v_and_b32_e32 v8, 0xff, v8
	v_mad_u64_u32 v[36:37], s[10:11], v8, 48, s[10:11]
	global_load_dwordx4 v[8:11], v[36:37], off offset:384
	global_load_dwordx4 v[12:15], v[36:37], off offset:416
	global_load_dwordx4 v[16:19], v[36:37], off offset:400
	v_mov_b32_e32 v44, v29
	v_mov_b32_e32 v36, v27
	;; [unrolled: 1-line block ×4, first 2 shown]
	s_waitcnt lgkmcnt(0)
	v_mov_b32_e32 v42, v35
	s_mov_b32 s10, 0x3f5ff5aa
	s_mov_b32 s18, 0x3f4a47b2
	;; [unrolled: 1-line block ×7, first 2 shown]
	s_waitcnt vmcnt(2)
	v_pk_mul_f32 v[46:47], v[26:27], v[8:9]
	v_pk_mul_f32 v[48:49], v[30:31], v[10:11]
	s_waitcnt vmcnt(1)
	v_pk_mul_f32 v[54:55], v[20:21], v[12:13]
	v_pk_mul_f32 v[56:57], v[34:35], v[14:15]
	s_waitcnt vmcnt(0)
	v_pk_mul_f32 v[44:45], v[44:45], v[16:17] op_sel:[0,1] op_sel_hi:[1,0]
	v_mov_b32_e32 v46, v9
	v_mov_b32_e32 v48, v11
	;; [unrolled: 1-line block ×4, first 2 shown]
	v_pk_mul_f32 v[58:59], v[28:29], v[16:17] op_sel:[0,1] op_sel_hi:[1,0]
	v_pk_fma_f32 v[28:29], v[28:29], v[16:17], v[44:45] neg_lo:[0,0,1] neg_hi:[0,0,1]
	v_mov_b32_e32 v44, v47
	v_mov_b32_e32 v60, v49
	;; [unrolled: 1-line block ×4, first 2 shown]
	v_mul_f32_e32 v37, v25, v19
	v_pk_mul_f32 v[46:47], v[30:31], v[46:47]
	v_pk_mul_f32 v[48:49], v[26:27], v[48:49]
	;; [unrolled: 1-line block ×4, first 2 shown]
	v_pk_fma_f32 v[30:31], v[30:31], v[8:9], v[44:45] neg_lo:[0,0,1] neg_hi:[0,0,1]
	v_pk_fma_f32 v[26:27], v[26:27], v[10:11], v[60:61] neg_lo:[0,0,1] neg_hi:[0,0,1]
	;; [unrolled: 1-line block ×4, first 2 shown]
	v_fma_f32 v66, v24, v18, -v37
	v_pk_fma_f32 v[36:37], v[36:37], v[8:9], v[46:47]
	v_pk_fma_f32 v[38:39], v[38:39], v[10:11], v[48:49]
	;; [unrolled: 1-line block ×3, first 2 shown]
	v_pk_fma_f32 v[42:43], v[42:43], v[14:15], v[56:57] op_sel_hi:[0,1,1]
	v_pk_add_f32 v[46:47], v[30:31], v[34:35] neg_lo:[0,1] neg_hi:[0,1]
	v_pk_add_f32 v[48:49], v[26:27], v[20:21] neg_lo:[0,1] neg_hi:[0,1]
	v_mul_f32_e32 v31, v25, v18
	v_mul_f32_e32 v35, v24, v19
	v_mov_b32_e32 v27, v59
	v_mov_b32_e32 v21, v58
	v_pk_add_f32 v[44:45], v[36:37], v[42:43]
	v_pk_add_f32 v[36:37], v[36:37], v[42:43] neg_lo:[0,1] neg_hi:[0,1]
	v_pk_add_f32 v[42:43], v[38:39], v[40:41]
	v_pk_add_f32 v[30:31], v[30:31], v[34:35]
	;; [unrolled: 1-line block ×3, first 2 shown]
	v_mov_b32_e32 v25, v38
	v_mov_b32_e32 v39, v40
	;; [unrolled: 1-line block ×6, first 2 shown]
	v_sub_f32_e32 v54, v66, v28
	v_pk_add_f32 v[26:27], v[20:21], v[30:31]
	v_pk_add_f32 v[28:29], v[28:29], v[66:67]
	v_pk_add_f32 v[24:25], v[24:25], v[38:39] neg_lo:[0,1] neg_hi:[0,1]
	v_mov_b32_e32 v21, v42
	v_mov_b32_e32 v31, v44
	;; [unrolled: 1-line block ×4, first 2 shown]
	v_pk_add_f32 v[26:27], v[28:29], v[26:27]
	v_mov_b32_e32 v28, v25
	v_pk_add_f32 v[40:41], v[48:49], v[46:47] neg_lo:[0,1] neg_hi:[0,1]
	v_mov_b32_e32 v34, v36
	v_sub_f32_e32 v47, v54, v48
	v_pk_add_f32 v[38:39], v[20:21], v[30:31] neg_lo:[0,1] neg_hi:[0,1]
	v_pk_add_f32 v[30:31], v[30:31], v[42:43] neg_lo:[0,1] neg_hi:[0,1]
	;; [unrolled: 1-line block ×4, first 2 shown]
	v_pk_add_f32 v[20:21], v[22:23], v[26:27]
	v_pk_add_f32 v[22:23], v[28:29], v[36:37] neg_lo:[0,1] neg_hi:[0,1]
	v_pk_add_f32 v[36:37], v[24:25], v[28:29]
	v_pk_add_f32 v[24:25], v[24:25], v[28:29] neg_lo:[0,1] neg_hi:[0,1]
	v_mov_b32_e32 v35, v46
	v_add_f32_e32 v41, v54, v48
	v_sub_f32_e32 v46, v46, v54
	v_mov_b32_e32 v23, v40
	v_mov_b32_e32 v25, v47
	v_pk_mul_f32 v[28:29], v[30:31], s[18:19] op_sel_hi:[1,0]
	v_pk_mul_f32 v[30:31], v[42:43], s[20:21] op_sel_hi:[1,0]
	v_mov_b32_e32 v37, v41
	v_pk_mul_f32 v[40:41], v[22:23], s[10:11] op_sel_hi:[1,0]
	v_mov_b32_e32 v45, v46
	s_mov_b32 s18, 0x3eae86e6
	v_pk_mul_f32 v[24:25], v[24:25], s[24:25] op_sel_hi:[1,0]
	v_pk_add_f32 v[34:35], v[36:37], v[34:35]
	v_pk_fma_f32 v[26:27], v[26:27], s[16:17], v[20:21] op_sel_hi:[1,0,1]
	v_pk_fma_f32 v[36:37], v[42:43], s[20:21], v[28:29] op_sel_hi:[1,0,1]
	v_pk_fma_f32 v[30:31], v[38:39], s[22:23], v[30:31] op_sel_hi:[1,0,1] neg_lo:[0,0,1] neg_hi:[0,0,1]
	v_pk_fma_f32 v[28:29], v[38:39], s[22:23], v[28:29] op_sel_hi:[1,0,1] neg_lo:[1,0,1] neg_hi:[1,0,1]
	v_pk_fma_f32 v[38:39], v[44:45], s[18:19], v[24:25] op_sel_hi:[1,0,1]
	v_pk_fma_f32 v[22:23], v[22:23], s[10:11], v[24:25] op_sel_hi:[1,0,1] neg_lo:[0,0,1] neg_hi:[0,0,1]
	v_pk_fma_f32 v[24:25], v[44:45], s[18:19], v[40:41] op_sel_hi:[1,0,1] neg_lo:[1,0,1] neg_hi:[1,0,1]
	v_pk_add_f32 v[36:37], v[36:37], v[26:27]
	v_pk_add_f32 v[40:41], v[30:31], v[26:27]
	v_pk_add_f32 v[26:27], v[28:29], v[26:27]
	v_pk_fma_f32 v[28:29], v[34:35], s[14:15], v[38:39] op_sel_hi:[1,0,1]
	v_pk_fma_f32 v[38:39], v[34:35], s[14:15], v[22:23] op_sel_hi:[1,0,1]
	;; [unrolled: 1-line block ×3, first 2 shown]
	v_pk_add_f32 v[34:35], v[36:37], v[28:29] neg_lo:[0,1] neg_hi:[0,1]
	v_pk_add_f32 v[36:37], v[36:37], v[28:29]
	v_pk_add_f32 v[30:31], v[26:27], v[24:25] neg_lo:[0,1] neg_hi:[0,1]
	v_pk_add_f32 v[42:43], v[26:27], v[24:25]
	v_pk_add_f32 v[28:29], v[40:41], v[38:39]
	v_pk_add_f32 v[38:39], v[40:41], v[38:39] neg_lo:[0,1] neg_hi:[0,1]
	v_mov_b32_e32 v22, v36
	v_mov_b32_e32 v23, v35
	;; [unrolled: 1-line block ×9, first 2 shown]
	s_and_saveexec_b64 s[10:11], s[0:1]
	s_cbranch_execz .LBB0_11
; %bb.10:
	v_add_u32_e32 v36, 0x400, v50
	ds_write2_b64 v50, v[20:21], v[22:23] offset1:54
	ds_write2_b64 v50, v[24:25], v[26:27] offset0:108 offset1:162
	ds_write2_b64 v36, v[28:29], v[30:31] offset0:88 offset1:142
	ds_write_b64 v50, v[34:35] offset:2592
.LBB0_11:
	s_or_b64 exec, exec, s[10:11]
	s_waitcnt lgkmcnt(0)
	s_barrier
	s_and_saveexec_b64 s[10:11], vcc
	s_cbranch_execz .LBB0_13
; %bb.12:
	global_load_dwordx2 v[36:37], v50, s[8:9] offset:3024
	s_add_u32 s14, s8, 0xbd0
	s_addc_u32 s15, s9, 0
	global_load_dwordx2 v[38:39], v50, s[14:15] offset:504
	global_load_dwordx2 v[40:41], v50, s[14:15] offset:1008
	;; [unrolled: 1-line block ×5, first 2 shown]
	ds_read_b64 v[48:49], v50
	ds_read_b64 v[54:55], v50 offset:504
	ds_read_b64 v[56:57], v50 offset:1008
	;; [unrolled: 1-line block ×5, first 2 shown]
	s_waitcnt vmcnt(5) lgkmcnt(5)
	v_mul_f32_e32 v64, v49, v37
	v_mul_f32_e32 v65, v48, v37
	v_fma_f32 v64, v48, v36, -v64
	v_fmac_f32_e32 v65, v49, v36
	s_waitcnt vmcnt(4) lgkmcnt(4)
	v_mul_f32_e32 v36, v55, v39
	v_mul_f32_e32 v37, v54, v39
	ds_write_b64 v50, v[64:65]
	s_waitcnt vmcnt(3) lgkmcnt(4)
	v_mul_f32_e32 v48, v57, v41
	v_mul_f32_e32 v39, v56, v41
	s_waitcnt vmcnt(2) lgkmcnt(3)
	v_mul_f32_e32 v49, v59, v43
	v_mul_f32_e32 v41, v58, v43
	;; [unrolled: 3-line block ×4, first 2 shown]
	v_fma_f32 v36, v54, v38, -v36
	v_fmac_f32_e32 v37, v55, v38
	v_fma_f32 v38, v56, v40, -v48
	v_fmac_f32_e32 v39, v57, v40
	;; [unrolled: 2-line block ×5, first 2 shown]
	ds_write_b64 v50, v[36:37] offset:504
	ds_write_b64 v50, v[38:39] offset:1008
	;; [unrolled: 1-line block ×5, first 2 shown]
.LBB0_13:
	s_or_b64 exec, exec, s[10:11]
	s_waitcnt lgkmcnt(0)
	s_barrier
	s_and_saveexec_b64 s[10:11], vcc
	s_cbranch_execz .LBB0_15
; %bb.14:
	v_add_u32_e32 v28, 0x400, v50
	ds_read2_b64 v[20:23], v50 offset1:63
	ds_read2_b64 v[24:27], v50 offset0:126 offset1:189
	ds_read2_b64 v[28:31], v28 offset0:124 offset1:187
.LBB0_15:
	s_or_b64 exec, exec, s[10:11]
	s_waitcnt lgkmcnt(0)
	v_pk_add_f32 v[54:55], v[26:27], v[30:31]
	v_pk_add_f32 v[44:45], v[28:29], v[24:25]
	v_pk_add_f32 v[46:47], v[24:25], v[28:29] neg_lo:[0,1] neg_hi:[0,1]
	v_pk_add_f32 v[48:49], v[26:27], v[22:23]
	v_fmac_f32_e32 v22, -0.5, v54
	v_pk_add_f32 v[26:27], v[26:27], v[30:31] neg_lo:[0,1] neg_hi:[0,1]
	s_mov_b32 s10, 0x3f5db3d7
	v_fmac_f32_e32 v23, -0.5, v55
	v_fmamk_f32 v54, v27, 0xbf5db3d7, v22
	v_fmac_f32_e32 v22, 0x3f5db3d7, v27
	v_pk_add_f32 v[24:25], v[24:25], v[20:21]
	v_pk_add_f32 v[30:31], v[30:31], v[48:49]
	v_fmamk_f32 v48, v26, 0x3f5db3d7, v23
	v_fmac_f32_e32 v23, 0xbf5db3d7, v26
	v_pk_fma_f32 v[20:21], -0.5, v[44:45], v[20:21] op_sel_hi:[0,1,1]
	v_pk_mul_f32 v[26:27], v[46:47], s[10:11] op_sel_hi:[1,0]
	s_mov_b32 s16, 0.5
	v_pk_add_f32 v[28:29], v[28:29], v[24:25]
	v_pk_add_f32 v[24:25], v[20:21], v[26:27] op_sel:[0,1] op_sel_hi:[1,0]
	v_pk_add_f32 v[20:21], v[20:21], v[26:27] op_sel:[0,1] op_sel_hi:[1,0] neg_lo:[0,1] neg_hi:[0,1]
	s_mov_b32 s11, s16
	v_mov_b32_e32 v44, v20
	s_mov_b32 s17, s10
	v_pk_mul_f32 v[26:27], v[48:49], s[10:11] op_sel_hi:[0,1]
	v_mov_b32_e32 v20, v23
	s_mov_b32 s14, -0.5
	v_mov_b32_e32 v45, v25
	v_pk_fma_f32 v[48:49], v[54:55], s[16:17], v[26:27] op_sel_hi:[0,1,1]
	v_pk_fma_f32 v[46:47], v[54:55], s[16:17], v[26:27] op_sel_hi:[0,1,1] neg_lo:[0,0,1] neg_hi:[0,0,1]
	v_mov_b32_e32 v25, v21
	s_mov_b32 s15, s10
	v_pk_mul_f32 v[20:21], v[20:21], s[10:11] op_sel_hi:[0,1]
	v_mov_b32_e32 v47, v49
	v_pk_fma_f32 v[48:49], v[22:23], s[14:15], v[20:21] op_sel_hi:[0,1,1] neg_lo:[0,0,1] neg_hi:[0,0,1]
	v_mov_b32_e32 v42, v0
	v_mov_b32_e32 v43, v0
	;; [unrolled: 1-line block ×12, first 2 shown]
	v_pk_add_f32 v[26:27], v[28:29], v[30:31] neg_lo:[0,1] neg_hi:[0,1]
	v_pk_add_f32 v[20:21], v[44:45], v[46:47] neg_lo:[0,1] neg_hi:[0,1]
	;; [unrolled: 1-line block ×3, first 2 shown]
	s_barrier
	s_and_saveexec_b64 s[14:15], vcc
	s_cbranch_execz .LBB0_17
; %bb.16:
	v_lshlrev_b32_e32 v51, 3, v51
	v_pk_add_f32 v[28:29], v[30:31], v[28:29]
	v_pk_add_f32 v[30:31], v[44:45], v[46:47]
	;; [unrolled: 1-line block ×3, first 2 shown]
	ds_write_b128 v51, v[28:31]
	ds_write_b128 v51, v[24:27] offset:16
	ds_write_b128 v51, v[20:23] offset:32
.LBB0_17:
	s_or_b64 exec, exec, s[14:15]
	s_waitcnt lgkmcnt(0)
	s_barrier
	ds_read2_b64 v[28:31], v50 offset1:126
	ds_read_b64 v[24:25], v50 offset:2016
	s_waitcnt lgkmcnt(0)
	s_barrier
	v_pk_mul_f32 v[0:1], v[0:1], v[30:31]
	s_nop 0
	v_pk_fma_f32 v[44:45], v[42:43], v[30:31], v[0:1] op_sel:[0,0,1] op_sel_hi:[1,1,0]
	v_pk_fma_f32 v[0:1], v[42:43], v[30:31], v[0:1] op_sel:[0,0,1] op_sel_hi:[1,1,0] neg_lo:[0,0,1] neg_hi:[0,0,1]
	s_nop 0
	v_mov_b32_e32 v45, v1
	v_pk_mul_f32 v[0:1], v[2:3], v[24:25]
	s_nop 0
	v_pk_fma_f32 v[2:3], v[40:41], v[24:25], v[0:1] op_sel:[0,0,1] op_sel_hi:[1,1,0]
	v_pk_fma_f32 v[0:1], v[40:41], v[24:25], v[0:1] op_sel:[0,0,1] op_sel_hi:[1,1,0] neg_lo:[0,0,1] neg_hi:[0,0,1]
	s_nop 0
	v_mov_b32_e32 v3, v1
	v_pk_add_f32 v[0:1], v[28:29], v[44:45]
	v_pk_add_f32 v[24:25], v[44:45], v[2:3]
	;; [unrolled: 1-line block ×3, first 2 shown]
	v_pk_add_f32 v[2:3], v[44:45], v[2:3] neg_lo:[0,1] neg_hi:[0,1]
	v_pk_fma_f32 v[24:25], v[24:25], 0.5, v[28:29] op_sel_hi:[1,0,1] neg_lo:[1,0,0] neg_hi:[1,0,0]
	v_pk_mul_f32 v[2:3], v[2:3], s[10:11] op_sel_hi:[1,0]
	s_nop 0
	v_pk_add_f32 v[28:29], v[24:25], v[2:3] op_sel:[0,1] op_sel_hi:[1,0] neg_lo:[0,1] neg_hi:[0,1]
	v_pk_add_f32 v[2:3], v[24:25], v[2:3] op_sel:[0,1] op_sel_hi:[1,0]
	v_mov_b32_e32 v24, v28
	v_mov_b32_e32 v25, v3
	;; [unrolled: 1-line block ×3, first 2 shown]
	ds_write2_b64 v52, v[0:1], v[24:25] offset1:6
	ds_write_b64 v52, v[2:3] offset:96
	s_waitcnt lgkmcnt(0)
	s_barrier
	ds_read2_b64 v[28:31], v50 offset1:126
	ds_read_b64 v[0:1], v50 offset:2016
	s_waitcnt lgkmcnt(0)
	s_barrier
	v_pk_mul_f32 v[2:3], v[4:5], v[30:31]
	s_nop 0
	v_pk_fma_f32 v[4:5], v[38:39], v[30:31], v[2:3] op_sel:[0,0,1] op_sel_hi:[1,1,0]
	v_pk_fma_f32 v[2:3], v[38:39], v[30:31], v[2:3] op_sel:[0,0,1] op_sel_hi:[1,1,0] neg_lo:[0,0,1] neg_hi:[0,0,1]
	s_nop 0
	v_mov_b32_e32 v5, v3
	v_pk_mul_f32 v[2:3], v[6:7], v[0:1]
	s_nop 0
	v_pk_fma_f32 v[6:7], v[36:37], v[0:1], v[2:3] op_sel:[0,0,1] op_sel_hi:[1,1,0]
	v_pk_fma_f32 v[0:1], v[36:37], v[0:1], v[2:3] op_sel:[0,0,1] op_sel_hi:[1,1,0] neg_lo:[0,0,1] neg_hi:[0,0,1]
	s_nop 0
	v_mov_b32_e32 v7, v1
	v_pk_add_f32 v[0:1], v[28:29], v[4:5]
	v_pk_add_f32 v[2:3], v[4:5], v[6:7]
	v_pk_add_f32 v[4:5], v[4:5], v[6:7] neg_lo:[0,1] neg_hi:[0,1]
	v_pk_add_f32 v[0:1], v[0:1], v[6:7]
	v_pk_fma_f32 v[2:3], v[2:3], 0.5, v[28:29] op_sel_hi:[1,0,1] neg_lo:[1,0,0] neg_hi:[1,0,0]
	v_pk_mul_f32 v[6:7], v[4:5], s[10:11] op_sel_hi:[1,0]
	s_nop 0
	v_pk_add_f32 v[4:5], v[6:7], v[2:3] op_sel:[1,0] op_sel_hi:[0,1]
	v_pk_add_f32 v[2:3], v[2:3], v[6:7] op_sel:[0,1] op_sel_hi:[1,0] neg_lo:[0,1] neg_hi:[0,1]
	v_mov_b32_e32 v7, v5
	v_mov_b32_e32 v6, v2
	ds_write2_b64 v53, v[0:1], v[6:7] offset1:18
	v_mov_b32_e32 v6, v4
	v_mov_b32_e32 v7, v3
	ds_write_b64 v53, v[6:7] offset:288
	s_waitcnt lgkmcnt(0)
	s_barrier
	s_and_saveexec_b64 s[10:11], s[2:3]
	s_xor_b64 s[2:3], exec, s[10:11]
	s_andn2_saveexec_b64 s[2:3], s[2:3]
	s_cbranch_execz .LBB0_19
; %bb.18:
	ds_read2_b64 v[0:3], v50 offset1:54
	ds_read2_b64 v[24:27], v50 offset0:108 offset1:162
	v_add_u32_e32 v4, 0x400, v50
	ds_read_b64 v[34:35], v50 offset:2592
	ds_read2_b64 v[20:23], v4 offset0:88 offset1:142
	s_waitcnt lgkmcnt(3)
	v_mov_b32_e32 v5, v3
	s_waitcnt lgkmcnt(2)
	v_mov_b32_e32 v4, v24
	v_mov_b32_e32 v3, v25
.LBB0_19:
	s_or_b64 exec, exec, s[2:3]
	s_and_saveexec_b64 s[2:3], s[0:1]
	s_cbranch_execz .LBB0_21
; %bb.20:
	v_mov_b32_e32 v6, v17
	v_mov_b32_e32 v7, v16
	v_pk_mul_f32 v[44:45], v[6:7], v[26:27]
	v_mov_b32_e32 v38, v27
	v_mov_b32_e32 v44, v45
	v_pk_mul_f32 v[16:17], v[16:17], v[26:27]
	v_pk_mul_f32 v[38:39], v[6:7], v[38:39]
	v_pk_fma_f32 v[6:7], v[6:7], v[26:27], v[44:45] neg_lo:[1,0,0] neg_hi:[1,0,0]
	s_waitcnt lgkmcnt(0)
	v_pk_mul_f32 v[26:27], v[18:19], v[20:21] op_sel:[1,0] op_sel_hi:[0,1]
	v_pk_mul_f32 v[28:29], v[14:15], v[34:35] op_sel_hi:[1,0]
	v_mov_b32_e32 v30, v35
	v_mov_b32_e32 v36, v21
	;; [unrolled: 1-line block ×3, first 2 shown]
	v_pk_mul_f32 v[24:25], v[8:9], v[2:3] op_sel_hi:[1,0]
	v_pk_mul_f32 v[34:35], v[18:19], v[20:21]
	v_pk_mul_f32 v[36:37], v[18:19], v[36:37] op_sel:[1,0] op_sel_hi:[0,1]
	v_pk_fma_f32 v[18:19], v[18:19], v[20:21], v[26:27] op_sel:[1,0,0] op_sel_hi:[0,1,1] neg_lo:[1,0,0] neg_hi:[1,0,0]
	v_pk_fma_f32 v[20:21], v[14:15], v[30:31], v[28:29] op_sel:[0,0,1] op_sel_hi:[1,0,0] neg_lo:[0,0,1] neg_hi:[0,0,1]
	v_pk_fma_f32 v[14:15], v[14:15], v[30:31], v[28:29] op_sel:[0,0,1] op_sel_hi:[1,0,0]
	v_pk_mul_f32 v[40:41], v[10:11], v[4:5] op_sel_hi:[1,0]
	v_pk_mul_f32 v[42:43], v[12:13], v[22:23] op_sel_hi:[1,0]
	v_mov_b32_e32 v21, v15
	v_pk_fma_f32 v[14:15], v[8:9], v[4:5], v[24:25] op_sel:[0,1,1] op_sel_hi:[1,1,0] neg_lo:[0,0,1] neg_hi:[0,0,1]
	v_pk_fma_f32 v[4:5], v[8:9], v[4:5], v[24:25] op_sel:[0,1,1] op_sel_hi:[1,1,0]
	v_pk_fma_f32 v[8:9], v[12:13], v[22:23], v[42:43] op_sel:[0,1,1] op_sel_hi:[1,1,0]
	v_mov_b32_e32 v15, v5
	v_pk_fma_f32 v[4:5], v[12:13], v[22:23], v[42:43] op_sel:[0,1,1] op_sel_hi:[1,1,0] neg_lo:[0,0,1] neg_hi:[0,0,1]
	v_mov_b32_e32 v35, v20
	v_mov_b32_e32 v5, v9
	v_pk_fma_f32 v[8:9], v[10:11], v[2:3], v[40:41] op_sel:[0,1,1] op_sel_hi:[1,1,0] neg_lo:[0,0,1] neg_hi:[0,0,1]
	v_pk_fma_f32 v[2:3], v[10:11], v[2:3], v[40:41] op_sel:[0,1,1] op_sel_hi:[1,1,0]
	v_mov_b32_e32 v37, v14
	v_mov_b32_e32 v9, v3
	;; [unrolled: 1-line block ×4, first 2 shown]
	v_pk_add_f32 v[2:3], v[20:21], v[14:15]
	v_pk_add_f32 v[10:11], v[4:5], v[8:9]
	v_pk_add_f32 v[12:13], v[14:15], v[20:21] neg_lo:[0,1] neg_hi:[0,1]
	v_pk_add_f32 v[22:23], v[8:9], v[4:5] neg_lo:[0,1] neg_hi:[0,1]
	v_pk_add_f32 v[14:15], v[34:35], v[36:37]
	v_pk_add_f32 v[4:5], v[16:17], v[38:39]
	v_mov_b32_e32 v19, v14
	v_mov_b32_e32 v7, v4
	v_pk_add_f32 v[8:9], v[18:19], v[6:7] neg_lo:[0,1] neg_hi:[0,1]
	s_mov_b32 s0, 0xbeae86e6
	v_mov_b32_e32 v20, v8
	s_mov_b32 s1, 0x3f08b237
	v_pk_add_f32 v[24:25], v[8:9], v[22:23]
	v_mov_b32_e32 v26, v8
	v_mov_b32_e32 v27, v13
	;; [unrolled: 1-line block ×6, first 2 shown]
	v_pk_add_f32 v[8:9], v[26:27], v[8:9] neg_lo:[0,1] neg_hi:[0,1]
	s_mov_b32 s14, s1
	s_mov_b32 s15, s0
	v_mov_b32_e32 v26, v11
	v_mov_b32_e32 v27, v6
	;; [unrolled: 1-line block ×4, first 2 shown]
	v_pk_add_f32 v[16:17], v[16:17], v[20:21] neg_lo:[0,1] neg_hi:[0,1]
	v_pk_mul_f32 v[8:9], v[8:9], s[14:15]
	v_pk_add_f32 v[6:7], v[26:27], v[6:7]
	v_pk_add_f32 v[18:19], v[4:5], v[14:15]
	v_pk_mul_f32 v[20:21], v[16:17], s[0:1]
	v_pk_fma_f32 v[16:17], v[16:17], s[0:1], v[8:9]
	v_pk_add_f32 v[26:27], v[6:7], v[18:19]
	v_mov_b32_e32 v6, v3
	v_mov_b32_e32 v19, v5
	s_mov_b32 s0, 0x3f4a47b2
	v_pk_add_f32 v[28:29], v[6:7], v[18:19] neg_lo:[0,1] neg_hi:[0,1]
	s_mov_b32 s1, 0x3d64c772
	v_mov_b32_e32 v19, v15
	v_mov_b32_e32 v6, v11
	v_pk_add_f32 v[6:7], v[18:19], v[6:7] neg_lo:[0,1] neg_hi:[0,1]
	s_mov_b32 s14, s1
	s_mov_b32 s15, s0
	v_pk_mul_f32 v[6:7], v[6:7], s[14:15]
	v_pk_add_f32 v[0:1], v[0:1], v[26:27]
	v_pk_mul_f32 v[30:31], v[28:29], s[0:1]
	v_pk_fma_f32 v[18:19], v[28:29], s[0:1], v[6:7]
	s_mov_b32 s0, 0xbf955555
	v_pk_add_f32 v[24:25], v[24:25], v[12:13]
	s_mov_b32 s10, 0xbee1c552
	v_pk_fma_f32 v[26:27], v[26:27], s[0:1], v[0:1] op_sel_hi:[1,0,1]
	v_pk_fma_f32 v[16:17], v[24:25], s[10:11], v[16:17] op_sel_hi:[1,0,1]
	v_pk_add_f32 v[18:19], v[18:19], v[26:27]
	v_mov_b32_e32 v4, v11
	v_pk_add_f32 v[28:29], v[18:19], v[16:17]
	v_pk_add_f32 v[16:17], v[18:19], v[16:17] neg_lo:[0,1] neg_hi:[0,1]
	v_mov_b32_e32 v18, v28
	v_mov_b32_e32 v19, v17
	v_mov_b32_e32 v14, v3
	ds_write2_b64 v50, v[0:1], v[18:19] offset1:54
	v_pk_add_f32 v[0:1], v[22:23], v[12:13] neg_lo:[0,1] neg_hi:[0,1]
	s_mov_b32 s0, 0xbf5ff5aa
	v_mov_b32_e32 v12, v20
	v_mov_b32_e32 v13, v9
	v_pk_add_f32 v[2:3], v[4:5], v[14:15] neg_lo:[0,1] neg_hi:[0,1]
	s_mov_b32 s14, 0x3f3bfb3b
	v_mov_b32_e32 v4, v30
	v_mov_b32_e32 v5, v7
	;; [unrolled: 1-line block ×4, first 2 shown]
	v_pk_fma_f32 v[12:13], v[0:1], s[0:1], v[12:13] op_sel_hi:[1,0,1] neg_lo:[1,0,1] neg_hi:[1,0,1]
	v_pk_fma_f32 v[4:5], v[2:3], s[14:15], v[4:5] op_sel_hi:[1,0,1] neg_lo:[1,0,1] neg_hi:[1,0,1]
	;; [unrolled: 1-line block ×4, first 2 shown]
	v_pk_fma_f32 v[12:13], v[24:25], s[10:11], v[12:13] op_sel_hi:[1,0,1]
	v_pk_add_f32 v[4:5], v[4:5], v[26:27]
	v_pk_fma_f32 v[0:1], v[24:25], s[10:11], v[0:1] op_sel_hi:[1,0,1]
	v_pk_add_f32 v[2:3], v[2:3], v[26:27]
	v_pk_add_f32 v[10:11], v[4:5], v[12:13]
	v_pk_add_f32 v[4:5], v[4:5], v[12:13] neg_lo:[0,1] neg_hi:[0,1]
	v_pk_add_f32 v[6:7], v[2:3], v[0:1] neg_lo:[0,1] neg_hi:[0,1]
	v_pk_add_f32 v[0:1], v[2:3], v[0:1]
	v_mov_b32_e32 v12, v10
	v_mov_b32_e32 v13, v5
	;; [unrolled: 1-line block ×4, first 2 shown]
	ds_write2_b64 v50, v[12:13], v[2:3] offset0:108 offset1:162
	v_mov_b32_e32 v1, v7
	v_mov_b32_e32 v5, v11
	v_add_u32_e32 v2, 0x400, v50
	v_mov_b32_e32 v17, v29
	ds_write2_b64 v2, v[0:1], v[4:5] offset0:88 offset1:142
	ds_write_b64 v50, v[16:17] offset:2592
.LBB0_21:
	s_or_b64 exec, exec, s[2:3]
	s_waitcnt lgkmcnt(0)
	s_barrier
	s_and_b64 exec, exec, vcc
	s_cbranch_execz .LBB0_23
; %bb.22:
	global_load_dwordx2 v[8:9], v50, s[8:9]
	global_load_dwordx2 v[10:11], v50, s[8:9] offset:504
	global_load_dwordx2 v[12:13], v50, s[8:9] offset:1008
	;; [unrolled: 1-line block ×5, first 2 shown]
	v_mad_u64_u32 v[20:21], s[0:1], s6, v32, 0
	ds_read2_b64 v[0:3], v50 offset1:126
	v_mad_u64_u32 v[22:23], s[2:3], s4, v33, 0
	v_mov_b32_e32 v30, v21
	ds_read2_b64 v[4:7], v50 offset0:63 offset1:189
	v_mov_b32_e32 v35, 0x1f8
	v_mov_b32_e32 v34, v23
	v_mad_u64_u32 v[30:31], s[2:3], s7, v32, v[30:31]
	v_mov_b32_e32 v18, s12
	v_mov_b32_e32 v19, s13
	v_mad_u64_u32 v[32:33], s[2:3], s5, v33, v[34:35]
	v_mov_b32_e32 v21, v30
	ds_read_b64 v[26:27], v50 offset:2016
	ds_read_b64 v[28:29], v50 offset:2520
	v_mov_b32_e32 v23, v32
	v_lshl_add_u64 v[18:19], v[20:21], 3, v[18:19]
	v_lshl_add_u64 v[18:19], v[22:23], 3, v[18:19]
	s_mul_i32 s6, s5, 0x1f8
	v_mad_u64_u32 v[20:21], s[2:3], s4, v35, v[18:19]
	s_mov_b32 s0, 0x6b015ac0
	v_add_u32_e32 v21, s6, v21
	s_mov_b32 s1, 0x3f65ac05
	v_mad_u64_u32 v[22:23], s[2:3], s4, v35, v[20:21]
	v_add_u32_e32 v23, s6, v23
	v_mad_u64_u32 v[30:31], s[2:3], s4, v35, v[22:23]
	v_add_u32_e32 v31, s6, v31
	s_waitcnt vmcnt(5) lgkmcnt(3)
	v_mul_f32_e32 v32, v1, v9
	v_mul_f32_e32 v9, v0, v9
	s_waitcnt vmcnt(4) lgkmcnt(2)
	v_mul_f32_e32 v33, v5, v11
	v_mul_f32_e32 v11, v4, v11
	s_waitcnt vmcnt(3)
	v_mul_f32_e32 v34, v3, v13
	v_mul_f32_e32 v13, v2, v13
	s_waitcnt vmcnt(2)
	v_mul_f32_e32 v36, v7, v15
	v_mul_f32_e32 v15, v6, v15
	v_fmac_f32_e32 v32, v0, v8
	v_fma_f32 v8, v8, v1, -v9
	s_waitcnt vmcnt(1) lgkmcnt(1)
	v_mul_f32_e32 v37, v27, v17
	v_fmac_f32_e32 v33, v4, v10
	v_fma_f32 v9, v10, v5, -v11
	v_fmac_f32_e32 v34, v2, v12
	v_fma_f32 v10, v12, v3, -v13
	;; [unrolled: 2-line block ×3, first 2 shown]
	v_cvt_f64_f32_e32 v[0:1], v32
	v_cvt_f64_f32_e32 v[2:3], v8
	v_fmac_f32_e32 v37, v26, v16
	v_cvt_f64_f32_e32 v[4:5], v33
	v_cvt_f64_f32_e32 v[6:7], v9
	;; [unrolled: 1-line block ×6, first 2 shown]
	v_mul_f64 v[0:1], v[0:1], s[0:1]
	v_mul_f64 v[2:3], v[2:3], s[0:1]
	v_cvt_f64_f32_e32 v[32:33], v37
	v_mul_f64 v[4:5], v[4:5], s[0:1]
	v_mul_f64 v[6:7], v[6:7], s[0:1]
	;; [unrolled: 1-line block ×6, first 2 shown]
	v_cvt_f32_f64_e32 v0, v[0:1]
	v_cvt_f32_f64_e32 v1, v[2:3]
	;; [unrolled: 1-line block ×8, first 2 shown]
	global_store_dwordx2 v[18:19], v[0:1], off
	global_store_dwordx2 v[20:21], v[2:3], off
	;; [unrolled: 1-line block ×4, first 2 shown]
	v_mul_f64 v[0:1], v[32:33], s[0:1]
	v_cvt_f32_f64_e32 v0, v[0:1]
	v_mul_f32_e32 v1, v26, v17
	v_fma_f32 v1, v16, v27, -v1
	v_cvt_f64_f32_e32 v[2:3], v1
	v_mul_f64 v[2:3], v[2:3], s[0:1]
	v_cvt_f32_f64_e32 v1, v[2:3]
	v_mad_u64_u32 v[2:3], s[2:3], s4, v35, v[30:31]
	v_add_u32_e32 v3, s6, v3
	global_store_dwordx2 v[2:3], v[0:1], off
	s_waitcnt vmcnt(5) lgkmcnt(0)
	v_mul_f32_e32 v0, v29, v25
	v_fmac_f32_e32 v0, v28, v24
	v_cvt_f64_f32_e32 v[0:1], v0
	v_mul_f64 v[0:1], v[0:1], s[0:1]
	v_cvt_f32_f64_e32 v0, v[0:1]
	v_mul_f32_e32 v1, v28, v25
	v_fma_f32 v1, v24, v29, -v1
	v_cvt_f64_f32_e32 v[4:5], v1
	v_mul_f64 v[4:5], v[4:5], s[0:1]
	v_mad_u64_u32 v[2:3], s[0:1], s4, v35, v[2:3]
	v_cvt_f32_f64_e32 v1, v[4:5]
	v_add_u32_e32 v3, s6, v3
	global_store_dwordx2 v[2:3], v[0:1], off
.LBB0_23:
	s_endpgm
	.section	.rodata,"a",@progbits
	.p2align	6, 0x0
	.amdhsa_kernel bluestein_single_back_len378_dim1_sp_op_CI_CI
		.amdhsa_group_segment_fixed_size 3024
		.amdhsa_private_segment_fixed_size 0
		.amdhsa_kernarg_size 104
		.amdhsa_user_sgpr_count 2
		.amdhsa_user_sgpr_dispatch_ptr 0
		.amdhsa_user_sgpr_queue_ptr 0
		.amdhsa_user_sgpr_kernarg_segment_ptr 1
		.amdhsa_user_sgpr_dispatch_id 0
		.amdhsa_user_sgpr_kernarg_preload_length 0
		.amdhsa_user_sgpr_kernarg_preload_offset 0
		.amdhsa_user_sgpr_private_segment_size 0
		.amdhsa_uses_dynamic_stack 0
		.amdhsa_enable_private_segment 0
		.amdhsa_system_sgpr_workgroup_id_x 1
		.amdhsa_system_sgpr_workgroup_id_y 0
		.amdhsa_system_sgpr_workgroup_id_z 0
		.amdhsa_system_sgpr_workgroup_info 0
		.amdhsa_system_vgpr_workitem_id 0
		.amdhsa_next_free_vgpr 68
		.amdhsa_next_free_sgpr 26
		.amdhsa_accum_offset 68
		.amdhsa_reserve_vcc 1
		.amdhsa_float_round_mode_32 0
		.amdhsa_float_round_mode_16_64 0
		.amdhsa_float_denorm_mode_32 3
		.amdhsa_float_denorm_mode_16_64 3
		.amdhsa_dx10_clamp 1
		.amdhsa_ieee_mode 1
		.amdhsa_fp16_overflow 0
		.amdhsa_tg_split 0
		.amdhsa_exception_fp_ieee_invalid_op 0
		.amdhsa_exception_fp_denorm_src 0
		.amdhsa_exception_fp_ieee_div_zero 0
		.amdhsa_exception_fp_ieee_overflow 0
		.amdhsa_exception_fp_ieee_underflow 0
		.amdhsa_exception_fp_ieee_inexact 0
		.amdhsa_exception_int_div_zero 0
	.end_amdhsa_kernel
	.text
.Lfunc_end0:
	.size	bluestein_single_back_len378_dim1_sp_op_CI_CI, .Lfunc_end0-bluestein_single_back_len378_dim1_sp_op_CI_CI
                                        ; -- End function
	.section	.AMDGPU.csdata,"",@progbits
; Kernel info:
; codeLenInByte = 5160
; NumSgprs: 32
; NumVgprs: 68
; NumAgprs: 0
; TotalNumVgprs: 68
; ScratchSize: 0
; MemoryBound: 0
; FloatMode: 240
; IeeeMode: 1
; LDSByteSize: 3024 bytes/workgroup (compile time only)
; SGPRBlocks: 3
; VGPRBlocks: 8
; NumSGPRsForWavesPerEU: 32
; NumVGPRsForWavesPerEU: 68
; AccumOffset: 68
; Occupancy: 7
; WaveLimiterHint : 1
; COMPUTE_PGM_RSRC2:SCRATCH_EN: 0
; COMPUTE_PGM_RSRC2:USER_SGPR: 2
; COMPUTE_PGM_RSRC2:TRAP_HANDLER: 0
; COMPUTE_PGM_RSRC2:TGID_X_EN: 1
; COMPUTE_PGM_RSRC2:TGID_Y_EN: 0
; COMPUTE_PGM_RSRC2:TGID_Z_EN: 0
; COMPUTE_PGM_RSRC2:TIDIG_COMP_CNT: 0
; COMPUTE_PGM_RSRC3_GFX90A:ACCUM_OFFSET: 16
; COMPUTE_PGM_RSRC3_GFX90A:TG_SPLIT: 0
	.text
	.p2alignl 6, 3212836864
	.fill 256, 4, 3212836864
	.type	__hip_cuid_2f59cd8b55b0f850,@object ; @__hip_cuid_2f59cd8b55b0f850
	.section	.bss,"aw",@nobits
	.globl	__hip_cuid_2f59cd8b55b0f850
__hip_cuid_2f59cd8b55b0f850:
	.byte	0                               ; 0x0
	.size	__hip_cuid_2f59cd8b55b0f850, 1

	.ident	"AMD clang version 19.0.0git (https://github.com/RadeonOpenCompute/llvm-project roc-6.4.0 25133 c7fe45cf4b819c5991fe208aaa96edf142730f1d)"
	.section	".note.GNU-stack","",@progbits
	.addrsig
	.addrsig_sym __hip_cuid_2f59cd8b55b0f850
	.amdgpu_metadata
---
amdhsa.kernels:
  - .agpr_count:     0
    .args:
      - .actual_access:  read_only
        .address_space:  global
        .offset:         0
        .size:           8
        .value_kind:     global_buffer
      - .actual_access:  read_only
        .address_space:  global
        .offset:         8
        .size:           8
        .value_kind:     global_buffer
      - .actual_access:  read_only
        .address_space:  global
        .offset:         16
        .size:           8
        .value_kind:     global_buffer
      - .actual_access:  read_only
        .address_space:  global
        .offset:         24
        .size:           8
        .value_kind:     global_buffer
      - .actual_access:  read_only
        .address_space:  global
        .offset:         32
        .size:           8
        .value_kind:     global_buffer
      - .offset:         40
        .size:           8
        .value_kind:     by_value
      - .address_space:  global
        .offset:         48
        .size:           8
        .value_kind:     global_buffer
      - .address_space:  global
        .offset:         56
        .size:           8
        .value_kind:     global_buffer
      - .address_space:  global
        .offset:         64
        .size:           8
        .value_kind:     global_buffer
      - .address_space:  global
        .offset:         72
        .size:           8
        .value_kind:     global_buffer
      - .offset:         80
        .size:           4
        .value_kind:     by_value
      - .address_space:  global
        .offset:         88
        .size:           8
        .value_kind:     global_buffer
      - .address_space:  global
        .offset:         96
        .size:           8
        .value_kind:     global_buffer
    .group_segment_fixed_size: 3024
    .kernarg_segment_align: 8
    .kernarg_segment_size: 104
    .language:       OpenCL C
    .language_version:
      - 2
      - 0
    .max_flat_workgroup_size: 126
    .name:           bluestein_single_back_len378_dim1_sp_op_CI_CI
    .private_segment_fixed_size: 0
    .sgpr_count:     32
    .sgpr_spill_count: 0
    .symbol:         bluestein_single_back_len378_dim1_sp_op_CI_CI.kd
    .uniform_work_group_size: 1
    .uses_dynamic_stack: false
    .vgpr_count:     68
    .vgpr_spill_count: 0
    .wavefront_size: 64
amdhsa.target:   amdgcn-amd-amdhsa--gfx950
amdhsa.version:
  - 1
  - 2
...

	.end_amdgpu_metadata
